;; amdgpu-corpus repo=ROCm/rocFFT kind=compiled arch=gfx1030 opt=O3
	.text
	.amdgcn_target "amdgcn-amd-amdhsa--gfx1030"
	.amdhsa_code_object_version 6
	.protected	fft_rtc_back_len1344_factors_2_2_2_2_2_2_3_7_wgs_224_tpt_224_halfLds_dp_ip_CI_unitstride_sbrr_R2C_dirReg ; -- Begin function fft_rtc_back_len1344_factors_2_2_2_2_2_2_3_7_wgs_224_tpt_224_halfLds_dp_ip_CI_unitstride_sbrr_R2C_dirReg
	.globl	fft_rtc_back_len1344_factors_2_2_2_2_2_2_3_7_wgs_224_tpt_224_halfLds_dp_ip_CI_unitstride_sbrr_R2C_dirReg
	.p2align	8
	.type	fft_rtc_back_len1344_factors_2_2_2_2_2_2_3_7_wgs_224_tpt_224_halfLds_dp_ip_CI_unitstride_sbrr_R2C_dirReg,@function
fft_rtc_back_len1344_factors_2_2_2_2_2_2_3_7_wgs_224_tpt_224_halfLds_dp_ip_CI_unitstride_sbrr_R2C_dirReg: ; @fft_rtc_back_len1344_factors_2_2_2_2_2_2_3_7_wgs_224_tpt_224_halfLds_dp_ip_CI_unitstride_sbrr_R2C_dirReg
; %bb.0:
	s_clause 0x2
	s_load_dwordx4 s[8:11], s[4:5], 0x0
	s_load_dwordx2 s[2:3], s[4:5], 0x50
	s_load_dwordx2 s[12:13], s[4:5], 0x18
	v_mul_u32_u24_e32 v1, 0x125, v0
	v_mov_b32_e32 v3, 0
	v_add_nc_u32_sdwa v5, s6, v1 dst_sel:DWORD dst_unused:UNUSED_PAD src0_sel:DWORD src1_sel:WORD_1
	v_mov_b32_e32 v1, 0
	v_mov_b32_e32 v6, v3
	v_mov_b32_e32 v2, 0
	s_waitcnt lgkmcnt(0)
	v_cmp_lt_u64_e64 s0, s[10:11], 2
	s_and_b32 vcc_lo, exec_lo, s0
	s_cbranch_vccnz .LBB0_8
; %bb.1:
	s_load_dwordx2 s[0:1], s[4:5], 0x10
	v_mov_b32_e32 v1, 0
	s_add_u32 s6, s12, 8
	v_mov_b32_e32 v2, 0
	s_addc_u32 s7, s13, 0
	s_mov_b64 s[16:17], 1
	s_waitcnt lgkmcnt(0)
	s_add_u32 s14, s0, 8
	s_addc_u32 s15, s1, 0
.LBB0_2:                                ; =>This Inner Loop Header: Depth=1
	s_load_dwordx2 s[18:19], s[14:15], 0x0
                                        ; implicit-def: $vgpr7_vgpr8
	s_mov_b32 s0, exec_lo
	s_waitcnt lgkmcnt(0)
	v_or_b32_e32 v4, s19, v6
	v_cmpx_ne_u64_e32 0, v[3:4]
	s_xor_b32 s1, exec_lo, s0
	s_cbranch_execz .LBB0_4
; %bb.3:                                ;   in Loop: Header=BB0_2 Depth=1
	v_cvt_f32_u32_e32 v4, s18
	v_cvt_f32_u32_e32 v7, s19
	s_sub_u32 s0, 0, s18
	s_subb_u32 s20, 0, s19
	v_fmac_f32_e32 v4, 0x4f800000, v7
	v_rcp_f32_e32 v4, v4
	v_mul_f32_e32 v4, 0x5f7ffffc, v4
	v_mul_f32_e32 v7, 0x2f800000, v4
	v_trunc_f32_e32 v7, v7
	v_fmac_f32_e32 v4, 0xcf800000, v7
	v_cvt_u32_f32_e32 v7, v7
	v_cvt_u32_f32_e32 v4, v4
	v_mul_lo_u32 v8, s0, v7
	v_mul_hi_u32 v9, s0, v4
	v_mul_lo_u32 v10, s20, v4
	v_add_nc_u32_e32 v8, v9, v8
	v_mul_lo_u32 v9, s0, v4
	v_add_nc_u32_e32 v8, v8, v10
	v_mul_hi_u32 v10, v4, v9
	v_mul_lo_u32 v11, v4, v8
	v_mul_hi_u32 v12, v4, v8
	v_mul_hi_u32 v13, v7, v9
	v_mul_lo_u32 v9, v7, v9
	v_mul_hi_u32 v14, v7, v8
	v_mul_lo_u32 v8, v7, v8
	v_add_co_u32 v10, vcc_lo, v10, v11
	v_add_co_ci_u32_e32 v11, vcc_lo, 0, v12, vcc_lo
	v_add_co_u32 v9, vcc_lo, v10, v9
	v_add_co_ci_u32_e32 v9, vcc_lo, v11, v13, vcc_lo
	v_add_co_ci_u32_e32 v10, vcc_lo, 0, v14, vcc_lo
	v_add_co_u32 v8, vcc_lo, v9, v8
	v_add_co_ci_u32_e32 v9, vcc_lo, 0, v10, vcc_lo
	v_add_co_u32 v4, vcc_lo, v4, v8
	v_add_co_ci_u32_e32 v7, vcc_lo, v7, v9, vcc_lo
	v_mul_hi_u32 v8, s0, v4
	v_mul_lo_u32 v10, s20, v4
	v_mul_lo_u32 v9, s0, v7
	v_add_nc_u32_e32 v8, v8, v9
	v_mul_lo_u32 v9, s0, v4
	v_add_nc_u32_e32 v8, v8, v10
	v_mul_hi_u32 v10, v4, v9
	v_mul_lo_u32 v11, v4, v8
	v_mul_hi_u32 v12, v4, v8
	v_mul_hi_u32 v13, v7, v9
	v_mul_lo_u32 v9, v7, v9
	v_mul_hi_u32 v14, v7, v8
	v_mul_lo_u32 v8, v7, v8
	v_add_co_u32 v10, vcc_lo, v10, v11
	v_add_co_ci_u32_e32 v11, vcc_lo, 0, v12, vcc_lo
	v_add_co_u32 v9, vcc_lo, v10, v9
	v_add_co_ci_u32_e32 v9, vcc_lo, v11, v13, vcc_lo
	v_add_co_ci_u32_e32 v10, vcc_lo, 0, v14, vcc_lo
	v_add_co_u32 v8, vcc_lo, v9, v8
	v_add_co_ci_u32_e32 v9, vcc_lo, 0, v10, vcc_lo
	v_add_co_u32 v4, vcc_lo, v4, v8
	v_add_co_ci_u32_e32 v11, vcc_lo, v7, v9, vcc_lo
	v_mul_hi_u32 v13, v5, v4
	v_mad_u64_u32 v[9:10], null, v6, v4, 0
	v_mad_u64_u32 v[7:8], null, v5, v11, 0
	;; [unrolled: 1-line block ×3, first 2 shown]
	v_add_co_u32 v4, vcc_lo, v13, v7
	v_add_co_ci_u32_e32 v7, vcc_lo, 0, v8, vcc_lo
	v_add_co_u32 v4, vcc_lo, v4, v9
	v_add_co_ci_u32_e32 v4, vcc_lo, v7, v10, vcc_lo
	v_add_co_ci_u32_e32 v7, vcc_lo, 0, v12, vcc_lo
	v_add_co_u32 v4, vcc_lo, v4, v11
	v_add_co_ci_u32_e32 v9, vcc_lo, 0, v7, vcc_lo
	v_mul_lo_u32 v10, s19, v4
	v_mad_u64_u32 v[7:8], null, s18, v4, 0
	v_mul_lo_u32 v11, s18, v9
	v_sub_co_u32 v7, vcc_lo, v5, v7
	v_add3_u32 v8, v8, v11, v10
	v_sub_nc_u32_e32 v10, v6, v8
	v_subrev_co_ci_u32_e64 v10, s0, s19, v10, vcc_lo
	v_add_co_u32 v11, s0, v4, 2
	v_add_co_ci_u32_e64 v12, s0, 0, v9, s0
	v_sub_co_u32 v13, s0, v7, s18
	v_sub_co_ci_u32_e32 v8, vcc_lo, v6, v8, vcc_lo
	v_subrev_co_ci_u32_e64 v10, s0, 0, v10, s0
	v_cmp_le_u32_e32 vcc_lo, s18, v13
	v_cmp_eq_u32_e64 s0, s19, v8
	v_cndmask_b32_e64 v13, 0, -1, vcc_lo
	v_cmp_le_u32_e32 vcc_lo, s19, v10
	v_cndmask_b32_e64 v14, 0, -1, vcc_lo
	v_cmp_le_u32_e32 vcc_lo, s18, v7
	;; [unrolled: 2-line block ×3, first 2 shown]
	v_cndmask_b32_e64 v15, 0, -1, vcc_lo
	v_cmp_eq_u32_e32 vcc_lo, s19, v10
	v_cndmask_b32_e64 v7, v15, v7, s0
	v_cndmask_b32_e32 v10, v14, v13, vcc_lo
	v_add_co_u32 v13, vcc_lo, v4, 1
	v_add_co_ci_u32_e32 v14, vcc_lo, 0, v9, vcc_lo
	v_cmp_ne_u32_e32 vcc_lo, 0, v10
	v_cndmask_b32_e32 v8, v14, v12, vcc_lo
	v_cndmask_b32_e32 v10, v13, v11, vcc_lo
	v_cmp_ne_u32_e32 vcc_lo, 0, v7
	v_cndmask_b32_e32 v8, v9, v8, vcc_lo
	v_cndmask_b32_e32 v7, v4, v10, vcc_lo
.LBB0_4:                                ;   in Loop: Header=BB0_2 Depth=1
	s_andn2_saveexec_b32 s0, s1
	s_cbranch_execz .LBB0_6
; %bb.5:                                ;   in Loop: Header=BB0_2 Depth=1
	v_cvt_f32_u32_e32 v4, s18
	s_sub_i32 s1, 0, s18
	v_rcp_iflag_f32_e32 v4, v4
	v_mul_f32_e32 v4, 0x4f7ffffe, v4
	v_cvt_u32_f32_e32 v4, v4
	v_mul_lo_u32 v7, s1, v4
	v_mul_hi_u32 v7, v4, v7
	v_add_nc_u32_e32 v4, v4, v7
	v_mul_hi_u32 v4, v5, v4
	v_mul_lo_u32 v7, v4, s18
	v_add_nc_u32_e32 v8, 1, v4
	v_sub_nc_u32_e32 v7, v5, v7
	v_subrev_nc_u32_e32 v9, s18, v7
	v_cmp_le_u32_e32 vcc_lo, s18, v7
	v_cndmask_b32_e32 v7, v7, v9, vcc_lo
	v_cndmask_b32_e32 v4, v4, v8, vcc_lo
	v_cmp_le_u32_e32 vcc_lo, s18, v7
	v_add_nc_u32_e32 v8, 1, v4
	v_cndmask_b32_e32 v7, v4, v8, vcc_lo
	v_mov_b32_e32 v8, v3
.LBB0_6:                                ;   in Loop: Header=BB0_2 Depth=1
	s_or_b32 exec_lo, exec_lo, s0
	s_load_dwordx2 s[0:1], s[6:7], 0x0
	v_mul_lo_u32 v4, v8, s18
	v_mul_lo_u32 v11, v7, s19
	v_mad_u64_u32 v[9:10], null, v7, s18, 0
	s_add_u32 s16, s16, 1
	s_addc_u32 s17, s17, 0
	s_add_u32 s6, s6, 8
	s_addc_u32 s7, s7, 0
	;; [unrolled: 2-line block ×3, first 2 shown]
	v_add3_u32 v4, v10, v11, v4
	v_sub_co_u32 v5, vcc_lo, v5, v9
	v_sub_co_ci_u32_e32 v4, vcc_lo, v6, v4, vcc_lo
	s_waitcnt lgkmcnt(0)
	v_mul_lo_u32 v6, s1, v5
	v_mul_lo_u32 v4, s0, v4
	v_mad_u64_u32 v[1:2], null, s0, v5, v[1:2]
	v_cmp_ge_u64_e64 s0, s[16:17], s[10:11]
	s_and_b32 vcc_lo, exec_lo, s0
	v_add3_u32 v2, v6, v2, v4
	s_cbranch_vccnz .LBB0_9
; %bb.7:                                ;   in Loop: Header=BB0_2 Depth=1
	v_mov_b32_e32 v5, v7
	v_mov_b32_e32 v6, v8
	s_branch .LBB0_2
.LBB0_8:
	v_mov_b32_e32 v8, v6
	v_mov_b32_e32 v7, v5
.LBB0_9:
	s_lshl_b64 s[0:1], s[10:11], 3
	v_mul_hi_u32 v3, 0x124924a, v0
	s_add_u32 s0, s12, s0
	s_addc_u32 s1, s13, s1
	s_load_dwordx2 s[0:1], s[0:1], 0x0
	s_load_dwordx2 s[4:5], s[4:5], 0x20
	v_mul_u32_u24_e32 v3, 0xe0, v3
	v_sub_nc_u32_e32 v28, v0, v3
	v_add_nc_u32_e32 v30, 0xe0, v28
	v_add_nc_u32_e32 v34, 0x1c0, v28
	s_waitcnt lgkmcnt(0)
	v_mul_lo_u32 v4, s0, v8
	v_mul_lo_u32 v5, s1, v7
	v_mad_u64_u32 v[1:2], null, s0, v7, v[1:2]
	v_cmp_gt_u64_e32 vcc_lo, s[4:5], v[7:8]
	v_cmp_le_u64_e64 s0, s[4:5], v[7:8]
	v_add3_u32 v2, v5, v2, v4
	s_and_saveexec_b32 s1, s0
	s_xor_b32 s0, exec_lo, s1
; %bb.10:
	v_add_nc_u32_e32 v30, 0xe0, v28
	v_add_nc_u32_e32 v34, 0x1c0, v28
; %bb.11:
	s_or_saveexec_b32 s1, s0
	v_lshlrev_b64 v[32:33], 4, v[1:2]
	s_xor_b32 exec_lo, exec_lo, s1
	s_cbranch_execz .LBB0_13
; %bb.12:
	v_mov_b32_e32 v29, 0
	v_add_co_u32 v2, s0, s2, v32
	v_add_co_ci_u32_e64 v3, s0, s3, v33, s0
	v_lshlrev_b64 v[0:1], 4, v[28:29]
	v_lshl_add_u32 v24, v28, 4, 0
	v_add_co_u32 v0, s0, v2, v0
	v_add_co_ci_u32_e64 v1, s0, v3, v1, s0
	v_add_co_u32 v4, s0, 0x800, v0
	v_add_co_ci_u32_e64 v5, s0, 0, v1, s0
	;; [unrolled: 2-line block ×6, first 2 shown]
	s_clause 0x5
	global_load_dwordx4 v[0:3], v[0:1], off
	global_load_dwordx4 v[4:7], v[4:5], off offset:1536
	global_load_dwordx4 v[8:11], v[8:9], off offset:1024
	;; [unrolled: 1-line block ×3, first 2 shown]
	global_load_dwordx4 v[16:19], v[16:17], off
	global_load_dwordx4 v[20:23], v[20:21], off offset:1536
	s_waitcnt vmcnt(5)
	ds_write_b128 v24, v[0:3]
	s_waitcnt vmcnt(4)
	ds_write_b128 v24, v[4:7] offset:3584
	s_waitcnt vmcnt(3)
	ds_write_b128 v24, v[8:11] offset:7168
	;; [unrolled: 2-line block ×5, first 2 shown]
.LBB0_13:
	s_or_b32 exec_lo, exec_lo, s1
	v_lshlrev_b32_e32 v29, 4, v28
	s_waitcnt lgkmcnt(0)
	s_barrier
	buffer_gl0_inv
	v_and_b32_e32 v47, 1, v28
	v_add_nc_u32_e32 v36, 0, v29
	v_lshl_add_u32 v38, v30, 5, 0
	v_lshl_add_u32 v37, v34, 5, 0
	v_lshlrev_b32_e32 v31, 4, v30
	v_lshlrev_b32_e32 v25, 4, v47
	ds_read_b128 v[0:3], v36 offset:10752
	ds_read_b128 v[4:7], v36
	ds_read_b128 v[8:11], v36 offset:3584
	ds_read_b128 v[12:15], v36 offset:14336
	;; [unrolled: 1-line block ×4, first 2 shown]
	v_add_nc_u32_e32 v24, v36, v29
	s_waitcnt lgkmcnt(0)
	s_barrier
	buffer_gl0_inv
	v_lshlrev_b32_e32 v35, 4, v34
	v_and_b32_e32 v49, 7, v28
	v_and_b32_e32 v55, 63, v28
	;; [unrolled: 1-line block ×3, first 2 shown]
	s_mov_b32 s0, 0xe8584caa
	s_mov_b32 s1, 0xbfebb67a
	;; [unrolled: 1-line block ×4, first 2 shown]
	v_add_f64 v[0:1], v[4:5], -v[0:1]
	v_add_f64 v[2:3], v[6:7], -v[2:3]
	;; [unrolled: 1-line block ×6, first 2 shown]
	v_fma_f64 v[4:5], v[4:5], 2.0, -v[0:1]
	v_fma_f64 v[6:7], v[6:7], 2.0, -v[2:3]
	;; [unrolled: 1-line block ×6, first 2 shown]
	ds_write_b128 v24, v[0:3] offset:16
	ds_write_b128 v38, v[12:15] offset:16
	;; [unrolled: 1-line block ×3, first 2 shown]
	ds_write_b128 v24, v[4:7]
	ds_write_b128 v38, v[8:11]
	;; [unrolled: 1-line block ×3, first 2 shown]
	s_waitcnt lgkmcnt(0)
	s_barrier
	buffer_gl0_inv
	global_load_dwordx4 v[2:5], v25, s[8:9]
	ds_read_b128 v[6:9], v36 offset:10752
	ds_read_b128 v[10:13], v36 offset:14336
	;; [unrolled: 1-line block ×3, first 2 shown]
	ds_read_b128 v[18:21], v36
	v_sub_nc_u32_e32 v0, v38, v31
	v_sub_nc_u32_e32 v1, v37, v35
	s_waitcnt vmcnt(0) lgkmcnt(3)
	v_mul_f64 v[22:23], v[8:9], v[4:5]
	v_mul_f64 v[24:25], v[6:7], v[4:5]
	s_waitcnt lgkmcnt(2)
	v_mul_f64 v[26:27], v[12:13], v[4:5]
	v_mul_f64 v[39:40], v[10:11], v[4:5]
	s_waitcnt lgkmcnt(1)
	v_mul_f64 v[41:42], v[16:17], v[4:5]
	v_mul_f64 v[43:44], v[14:15], v[4:5]
	v_fma_f64 v[22:23], v[6:7], v[2:3], v[22:23]
	v_fma_f64 v[24:25], v[8:9], v[2:3], -v[24:25]
	v_fma_f64 v[26:27], v[10:11], v[2:3], v[26:27]
	v_fma_f64 v[39:40], v[12:13], v[2:3], -v[39:40]
	v_fma_f64 v[41:42], v[14:15], v[2:3], v[41:42]
	ds_read_b128 v[4:7], v0
	ds_read_b128 v[8:11], v1
	v_fma_f64 v[2:3], v[16:17], v[2:3], -v[43:44]
	s_waitcnt lgkmcnt(0)
	s_barrier
	buffer_gl0_inv
	v_add_f64 v[12:13], v[18:19], -v[22:23]
	v_add_f64 v[14:15], v[20:21], -v[24:25]
	;; [unrolled: 1-line block ×5, first 2 shown]
	v_and_b32_e32 v27, 3, v28
	v_add_f64 v[41:42], v[10:11], -v[2:3]
	v_lshlrev_b32_e32 v2, 1, v28
	v_lshlrev_b32_e32 v3, 1, v30
	v_fma_f64 v[16:17], v[18:19], 2.0, -v[12:13]
	v_fma_f64 v[18:19], v[20:21], 2.0, -v[14:15]
	v_lshlrev_b32_e32 v20, 4, v27
	v_fma_f64 v[43:44], v[4:5], 2.0, -v[22:23]
	v_fma_f64 v[45:46], v[6:7], 2.0, -v[24:25]
	;; [unrolled: 1-line block ×3, first 2 shown]
	v_lshlrev_b32_e32 v4, 1, v34
	v_fma_f64 v[7:8], v[10:11], 2.0, -v[41:42]
	v_and_or_b32 v9, 0x1fc, v2, v47
	v_and_or_b32 v10, 0x3fc, v3, v47
	;; [unrolled: 1-line block ×3, first 2 shown]
	v_lshl_add_u32 v9, v9, 4, 0
	v_lshl_add_u32 v10, v10, 4, 0
	;; [unrolled: 1-line block ×3, first 2 shown]
	ds_write_b128 v9, v[12:15] offset:32
	ds_write_b128 v9, v[16:19]
	ds_write_b128 v10, v[43:46]
	ds_write_b128 v10, v[22:25] offset:32
	ds_write_b128 v11, v[5:8]
	ds_write_b128 v11, v[39:42] offset:32
	s_waitcnt lgkmcnt(0)
	s_barrier
	buffer_gl0_inv
	global_load_dwordx4 v[5:8], v20, s[8:9] offset:32
	ds_read_b128 v[9:12], v36 offset:10752
	ds_read_b128 v[13:16], v36 offset:14336
	;; [unrolled: 1-line block ×3, first 2 shown]
	ds_read_b128 v[21:24], v36
	s_waitcnt vmcnt(0) lgkmcnt(3)
	v_mul_f64 v[25:26], v[11:12], v[7:8]
	v_mul_f64 v[39:40], v[9:10], v[7:8]
	s_waitcnt lgkmcnt(2)
	v_mul_f64 v[41:42], v[15:16], v[7:8]
	v_mul_f64 v[43:44], v[13:14], v[7:8]
	s_waitcnt lgkmcnt(1)
	v_mul_f64 v[45:46], v[19:20], v[7:8]
	v_mul_f64 v[47:48], v[17:18], v[7:8]
	v_fma_f64 v[25:26], v[9:10], v[5:6], v[25:26]
	v_fma_f64 v[39:40], v[11:12], v[5:6], -v[39:40]
	v_fma_f64 v[41:42], v[13:14], v[5:6], v[41:42]
	v_fma_f64 v[43:44], v[15:16], v[5:6], -v[43:44]
	v_fma_f64 v[45:46], v[17:18], v[5:6], v[45:46]
	ds_read_b128 v[7:10], v0
	ds_read_b128 v[11:14], v1
	v_fma_f64 v[5:6], v[19:20], v[5:6], -v[47:48]
	s_waitcnt lgkmcnt(0)
	s_barrier
	buffer_gl0_inv
	v_add_f64 v[15:16], v[21:22], -v[25:26]
	v_add_f64 v[17:18], v[23:24], -v[39:40]
	;; [unrolled: 1-line block ×6, first 2 shown]
	v_fma_f64 v[19:20], v[21:22], 2.0, -v[15:16]
	v_fma_f64 v[21:22], v[23:24], 2.0, -v[17:18]
	v_and_or_b32 v23, 0x7f8, v4, v27
	v_fma_f64 v[5:6], v[7:8], 2.0, -v[39:40]
	v_fma_f64 v[7:8], v[9:10], 2.0, -v[41:42]
	;; [unrolled: 1-line block ×3, first 2 shown]
	v_lshlrev_b32_e32 v24, 4, v49
	v_fma_f64 v[11:12], v[13:14], 2.0, -v[45:46]
	v_and_or_b32 v13, 0x1f8, v2, v27
	v_and_or_b32 v14, 0x3f8, v3, v27
	v_lshl_add_u32 v23, v23, 4, 0
	v_and_b32_e32 v27, 15, v28
	v_lshl_add_u32 v13, v13, 4, 0
	v_lshl_add_u32 v14, v14, 4, 0
	ds_write_b128 v13, v[15:18] offset:64
	ds_write_b128 v13, v[19:22]
	ds_write_b128 v14, v[5:8]
	ds_write_b128 v14, v[39:42] offset:64
	ds_write_b128 v23, v[9:12]
	ds_write_b128 v23, v[43:46] offset:64
	s_waitcnt lgkmcnt(0)
	s_barrier
	buffer_gl0_inv
	global_load_dwordx4 v[5:8], v24, s[8:9] offset:96
	ds_read_b128 v[9:12], v36 offset:10752
	ds_read_b128 v[13:16], v36 offset:14336
	;; [unrolled: 1-line block ×3, first 2 shown]
	ds_read_b128 v[21:24], v36
	s_waitcnt vmcnt(0) lgkmcnt(3)
	v_mul_f64 v[25:26], v[11:12], v[7:8]
	v_mul_f64 v[39:40], v[9:10], v[7:8]
	s_waitcnt lgkmcnt(2)
	v_mul_f64 v[41:42], v[15:16], v[7:8]
	v_mul_f64 v[43:44], v[13:14], v[7:8]
	s_waitcnt lgkmcnt(1)
	v_mul_f64 v[45:46], v[19:20], v[7:8]
	v_mul_f64 v[47:48], v[17:18], v[7:8]
	v_fma_f64 v[25:26], v[9:10], v[5:6], v[25:26]
	v_fma_f64 v[39:40], v[11:12], v[5:6], -v[39:40]
	v_fma_f64 v[41:42], v[13:14], v[5:6], v[41:42]
	v_fma_f64 v[43:44], v[15:16], v[5:6], -v[43:44]
	v_fma_f64 v[45:46], v[17:18], v[5:6], v[45:46]
	ds_read_b128 v[7:10], v0
	ds_read_b128 v[11:14], v1
	v_fma_f64 v[5:6], v[19:20], v[5:6], -v[47:48]
	s_waitcnt lgkmcnt(0)
	s_barrier
	buffer_gl0_inv
	v_add_f64 v[15:16], v[21:22], -v[25:26]
	v_add_f64 v[17:18], v[23:24], -v[39:40]
	;; [unrolled: 1-line block ×6, first 2 shown]
	v_fma_f64 v[19:20], v[21:22], 2.0, -v[15:16]
	v_fma_f64 v[21:22], v[23:24], 2.0, -v[17:18]
	v_and_or_b32 v23, 0x7f0, v4, v49
	v_fma_f64 v[5:6], v[7:8], 2.0, -v[39:40]
	v_fma_f64 v[7:8], v[9:10], 2.0, -v[41:42]
	;; [unrolled: 1-line block ×3, first 2 shown]
	v_lshlrev_b32_e32 v24, 4, v27
	v_fma_f64 v[11:12], v[13:14], 2.0, -v[45:46]
	v_and_or_b32 v13, 0x1f0, v2, v49
	v_and_or_b32 v14, 0x3f0, v3, v49
	v_lshl_add_u32 v23, v23, 4, 0
	v_and_b32_e32 v49, 31, v28
	v_lshl_add_u32 v13, v13, 4, 0
	v_lshl_add_u32 v14, v14, 4, 0
	ds_write_b128 v13, v[15:18] offset:128
	ds_write_b128 v13, v[19:22]
	ds_write_b128 v14, v[5:8]
	ds_write_b128 v14, v[39:42] offset:128
	ds_write_b128 v23, v[9:12]
	ds_write_b128 v23, v[43:46] offset:128
	s_waitcnt lgkmcnt(0)
	s_barrier
	buffer_gl0_inv
	global_load_dwordx4 v[5:8], v24, s[8:9] offset:224
	ds_read_b128 v[9:12], v36 offset:10752
	ds_read_b128 v[13:16], v36 offset:14336
	ds_read_b128 v[17:20], v36 offset:17920
	ds_read_b128 v[21:24], v36
	s_waitcnt vmcnt(0) lgkmcnt(3)
	v_mul_f64 v[25:26], v[11:12], v[7:8]
	v_mul_f64 v[39:40], v[9:10], v[7:8]
	s_waitcnt lgkmcnt(2)
	v_mul_f64 v[41:42], v[15:16], v[7:8]
	v_mul_f64 v[43:44], v[13:14], v[7:8]
	s_waitcnt lgkmcnt(1)
	v_mul_f64 v[45:46], v[19:20], v[7:8]
	v_mul_f64 v[47:48], v[17:18], v[7:8]
	v_fma_f64 v[25:26], v[9:10], v[5:6], v[25:26]
	v_fma_f64 v[39:40], v[11:12], v[5:6], -v[39:40]
	v_fma_f64 v[41:42], v[13:14], v[5:6], v[41:42]
	v_fma_f64 v[43:44], v[15:16], v[5:6], -v[43:44]
	v_fma_f64 v[45:46], v[17:18], v[5:6], v[45:46]
	ds_read_b128 v[7:10], v0
	ds_read_b128 v[11:14], v1
	v_fma_f64 v[5:6], v[19:20], v[5:6], -v[47:48]
	s_waitcnt lgkmcnt(0)
	s_barrier
	buffer_gl0_inv
	v_add_f64 v[15:16], v[21:22], -v[25:26]
	v_add_f64 v[17:18], v[23:24], -v[39:40]
	;; [unrolled: 1-line block ×6, first 2 shown]
	v_fma_f64 v[19:20], v[21:22], 2.0, -v[15:16]
	v_fma_f64 v[21:22], v[23:24], 2.0, -v[17:18]
	v_and_or_b32 v23, 0x7e0, v4, v27
	v_fma_f64 v[5:6], v[7:8], 2.0, -v[39:40]
	v_fma_f64 v[7:8], v[9:10], 2.0, -v[41:42]
	;; [unrolled: 1-line block ×3, first 2 shown]
	v_lshlrev_b32_e32 v24, 4, v49
	v_fma_f64 v[11:12], v[13:14], 2.0, -v[45:46]
	v_and_or_b32 v13, 0x1e0, v2, v27
	v_and_or_b32 v14, 0x3e0, v3, v27
	v_lshl_add_u32 v23, v23, 4, 0
	v_and_or_b32 v2, 0x1c0, v2, v49
	v_and_or_b32 v3, 0x3c0, v3, v49
	v_lshl_add_u32 v13, v13, 4, 0
	v_lshl_add_u32 v14, v14, 4, 0
	ds_write_b128 v13, v[15:18] offset:256
	ds_write_b128 v13, v[19:22]
	ds_write_b128 v14, v[5:8]
	ds_write_b128 v14, v[39:42] offset:256
	ds_write_b128 v23, v[9:12]
	ds_write_b128 v23, v[43:46] offset:256
	s_waitcnt lgkmcnt(0)
	s_barrier
	buffer_gl0_inv
	global_load_dwordx4 v[5:8], v24, s[8:9] offset:480
	ds_read_b128 v[9:12], v36 offset:10752
	ds_read_b128 v[13:16], v36 offset:14336
	;; [unrolled: 1-line block ×3, first 2 shown]
	ds_read_b128 v[21:24], v36
	v_and_or_b32 v4, 0x7c0, v4, v49
	v_lshl_add_u32 v2, v2, 4, 0
	v_lshl_add_u32 v3, v3, 4, 0
	;; [unrolled: 1-line block ×3, first 2 shown]
	s_waitcnt vmcnt(0) lgkmcnt(3)
	v_mul_f64 v[25:26], v[11:12], v[7:8]
	v_mul_f64 v[39:40], v[9:10], v[7:8]
	s_waitcnt lgkmcnt(2)
	v_mul_f64 v[41:42], v[15:16], v[7:8]
	v_mul_f64 v[43:44], v[13:14], v[7:8]
	s_waitcnt lgkmcnt(1)
	v_mul_f64 v[45:46], v[19:20], v[7:8]
	v_mul_f64 v[47:48], v[17:18], v[7:8]
	v_fma_f64 v[25:26], v[9:10], v[5:6], v[25:26]
	v_fma_f64 v[39:40], v[11:12], v[5:6], -v[39:40]
	v_fma_f64 v[41:42], v[13:14], v[5:6], v[41:42]
	v_fma_f64 v[43:44], v[15:16], v[5:6], -v[43:44]
	v_fma_f64 v[45:46], v[17:18], v[5:6], v[45:46]
	ds_read_b128 v[7:10], v0
	ds_read_b128 v[11:14], v1
	v_fma_f64 v[5:6], v[19:20], v[5:6], -v[47:48]
	s_waitcnt lgkmcnt(0)
	s_barrier
	buffer_gl0_inv
	v_add_f64 v[15:16], v[21:22], -v[25:26]
	v_add_f64 v[17:18], v[23:24], -v[39:40]
	;; [unrolled: 1-line block ×6, first 2 shown]
	v_fma_f64 v[19:20], v[21:22], 2.0, -v[15:16]
	v_fma_f64 v[21:22], v[23:24], 2.0, -v[17:18]
	v_fma_f64 v[5:6], v[7:8], 2.0, -v[39:40]
	v_fma_f64 v[7:8], v[9:10], 2.0, -v[41:42]
	v_fma_f64 v[9:10], v[11:12], 2.0, -v[43:44]
	v_fma_f64 v[11:12], v[13:14], 2.0, -v[45:46]
	v_lshlrev_b32_e32 v13, 5, v55
	ds_write_b128 v2, v[15:18] offset:512
	ds_write_b128 v2, v[19:22]
	ds_write_b128 v3, v[5:8]
	ds_write_b128 v3, v[39:42] offset:512
	ds_write_b128 v4, v[9:12]
	ds_write_b128 v4, v[43:46] offset:512
	s_waitcnt lgkmcnt(0)
	s_barrier
	buffer_gl0_inv
	s_clause 0x1
	global_load_dwordx4 v[2:5], v13, s[8:9] offset:992
	global_load_dwordx4 v[6:9], v13, s[8:9] offset:1008
	v_lshlrev_b32_e32 v14, 5, v56
	s_clause 0x1
	global_load_dwordx4 v[10:13], v14, s[8:9] offset:992
	global_load_dwordx4 v[14:17], v14, s[8:9] offset:1008
	ds_read_b128 v[18:21], v1
	ds_read_b128 v[22:25], v36 offset:14336
	ds_read_b128 v[39:42], v0
	ds_read_b128 v[43:46], v36 offset:17920
	ds_read_b128 v[47:50], v36 offset:10752
	s_waitcnt vmcnt(3) lgkmcnt(4)
	v_mul_f64 v[0:1], v[20:21], v[4:5]
	v_mul_f64 v[4:5], v[18:19], v[4:5]
	s_waitcnt vmcnt(2) lgkmcnt(3)
	v_mul_f64 v[26:27], v[24:25], v[8:9]
	v_mul_f64 v[8:9], v[22:23], v[8:9]
	s_waitcnt vmcnt(0) lgkmcnt(1)
	v_mul_f64 v[51:52], v[45:46], v[16:17]
	v_fma_f64 v[18:19], v[18:19], v[2:3], v[0:1]
	v_fma_f64 v[4:5], v[20:21], v[2:3], -v[4:5]
	s_waitcnt lgkmcnt(0)
	v_mul_f64 v[20:21], v[49:50], v[12:13]
	v_mul_f64 v[12:13], v[47:48], v[12:13]
	v_fma_f64 v[22:23], v[22:23], v[6:7], v[26:27]
	v_fma_f64 v[6:7], v[24:25], v[6:7], -v[8:9]
	v_mul_f64 v[8:9], v[43:44], v[16:17]
	ds_read_b128 v[0:3], v36
	s_waitcnt lgkmcnt(0)
	s_barrier
	buffer_gl0_inv
	v_fma_f64 v[16:17], v[47:48], v[10:11], v[20:21]
	v_fma_f64 v[20:21], v[43:44], v[14:15], v[51:52]
	v_fma_f64 v[10:11], v[49:50], v[10:11], -v[12:13]
	v_add_f64 v[43:44], v[0:1], v[18:19]
	v_fma_f64 v[12:13], v[45:46], v[14:15], -v[8:9]
	v_add_f64 v[8:9], v[18:19], v[22:23]
	v_add_f64 v[14:15], v[4:5], v[6:7]
	v_add_f64 v[45:46], v[4:5], -v[6:7]
	v_add_f64 v[4:5], v[2:3], v[4:5]
	v_add_f64 v[18:19], v[18:19], -v[22:23]
	v_add_f64 v[47:48], v[39:40], v[16:17]
	v_add_f64 v[24:25], v[16:17], v[20:21]
	;; [unrolled: 1-line block ×4, first 2 shown]
	v_fma_f64 v[51:52], v[8:9], -0.5, v[0:1]
	v_fma_f64 v[14:15], v[14:15], -0.5, v[2:3]
	v_add_f64 v[53:54], v[10:11], -v[12:13]
	v_lshrrev_b32_e32 v0, 6, v30
	v_add_f64 v[2:3], v[4:5], v[6:7]
	v_add_f64 v[8:9], v[47:48], v[20:21]
	v_fma_f64 v[24:25], v[24:25], -0.5, v[39:40]
	v_add_f64 v[39:40], v[16:17], -v[20:21]
	v_add_f64 v[10:11], v[49:50], v[12:13]
	v_fma_f64 v[26:27], v[26:27], -0.5, v[41:42]
	v_mul_lo_u32 v42, 0xc0, v0
	v_add_f64 v[0:1], v[43:44], v[22:23]
	v_fma_f64 v[4:5], v[45:46], s[0:1], v[51:52]
	v_fma_f64 v[16:17], v[45:46], s[4:5], v[51:52]
	;; [unrolled: 1-line block ×4, first 2 shown]
	v_lshrrev_b32_e32 v41, 6, v28
	v_fma_f64 v[12:13], v[53:54], s[0:1], v[24:25]
	v_fma_f64 v[20:21], v[53:54], s[4:5], v[24:25]
	v_mul_u32_u24_e32 v24, 0xc0, v41
	v_fma_f64 v[14:15], v[39:40], s[4:5], v[26:27]
	v_fma_f64 v[22:23], v[39:40], s[0:1], v[26:27]
	v_or_b32_e32 v25, v42, v56
	v_cmp_gt_u32_e64 s0, 0xc0, v28
	v_or_b32_e32 v24, v24, v55
                                        ; implicit-def: $vgpr26_vgpr27
	v_lshl_add_u32 v25, v25, 4, 0
	v_lshl_add_u32 v24, v24, 4, 0
	ds_write_b128 v24, v[0:3]
	ds_write_b128 v24, v[4:7] offset:1024
	ds_write_b128 v24, v[16:19] offset:2048
	ds_write_b128 v25, v[8:11]
	ds_write_b128 v25, v[12:15] offset:1024
	ds_write_b128 v25, v[20:23] offset:2048
	s_waitcnt lgkmcnt(0)
	s_barrier
	buffer_gl0_inv
	s_and_saveexec_b32 s1, s0
	s_cbranch_execz .LBB0_15
; %bb.14:
	ds_read_b128 v[0:3], v36
	ds_read_b128 v[4:7], v36 offset:3072
	ds_read_b128 v[16:19], v36 offset:6144
	;; [unrolled: 1-line block ×6, first 2 shown]
.LBB0_15:
	s_or_b32 exec_lo, exec_lo, s1
	s_waitcnt lgkmcnt(0)
	s_barrier
	buffer_gl0_inv
	s_and_saveexec_b32 s1, s0
	s_cbranch_execz .LBB0_17
; %bb.16:
	v_add_nc_u32_e32 v39, 0xffffff40, v28
	v_mov_b32_e32 v40, 0
	s_mov_b32 s4, 0xe976ee23
	s_mov_b32 s5, 0x3fe11646
	;; [unrolled: 1-line block ×3, first 2 shown]
	v_cndmask_b32_e64 v39, v39, v28, s0
	s_mov_b32 s7, 0x3fe948f6
	s_mov_b32 s10, 0x429ad128
	;; [unrolled: 1-line block ×4, first 2 shown]
	v_mul_i32_i24_e32 v39, 6, v39
	s_mov_b32 s14, 0x5476071b
	s_mov_b32 s12, 0xaaaaaaaa
	;; [unrolled: 1-line block ×3, first 2 shown]
	v_lshlrev_b64 v[39:40], 4, v[39:40]
	v_add_co_u32 v51, s0, s8, v39
	v_add_co_ci_u32_e64 v52, s0, s9, v40, s0
	v_add_co_u32 v59, s0, 0xbe0, v51
	v_add_co_ci_u32_e64 v60, s0, 0, v52, s0
	v_add_co_u32 v47, s0, 0x800, v51
	v_add_co_ci_u32_e64 v48, s0, 0, v52, s0
	global_load_dwordx4 v[39:42], v[59:60], off offset:16
	v_add_co_u32 v51, s0, 0xc20, v51
	s_clause 0x1
	global_load_dwordx4 v[43:46], v[47:48], off offset:1056
	global_load_dwordx4 v[47:50], v[47:48], off offset:992
	v_add_co_ci_u32_e64 v52, s0, 0, v52, s0
	s_clause 0x2
	global_load_dwordx4 v[51:54], v[51:52], off offset:16
	global_load_dwordx4 v[55:58], v[59:60], off offset:48
	;; [unrolled: 1-line block ×3, first 2 shown]
	s_waitcnt vmcnt(5)
	v_mul_f64 v[63:64], v[18:19], v[41:42]
	v_mul_f64 v[41:42], v[16:17], v[41:42]
	v_fma_f64 v[16:17], v[16:17], v[39:40], v[63:64]
	v_fma_f64 v[18:19], v[18:19], v[39:40], -v[41:42]
	s_waitcnt vmcnt(4)
	v_mul_f64 v[39:40], v[22:23], v[45:46]
	v_mul_f64 v[41:42], v[20:21], v[45:46]
	s_waitcnt vmcnt(3)
	v_mul_f64 v[45:46], v[6:7], v[49:50]
	v_mul_f64 v[49:50], v[4:5], v[49:50]
	v_fma_f64 v[20:21], v[20:21], v[43:44], v[39:40]
	v_fma_f64 v[22:23], v[22:23], v[43:44], -v[41:42]
	s_waitcnt vmcnt(2)
	v_mul_f64 v[39:40], v[24:25], v[53:54]
	v_mul_f64 v[41:42], v[26:27], v[53:54]
	s_waitcnt vmcnt(1)
	v_mul_f64 v[43:44], v[14:15], v[57:58]
	s_waitcnt vmcnt(0)
	v_mul_f64 v[53:54], v[10:11], v[61:62]
	v_fma_f64 v[4:5], v[4:5], v[47:48], v[45:46]
	v_fma_f64 v[6:7], v[6:7], v[47:48], -v[49:50]
	v_mul_f64 v[45:46], v[8:9], v[61:62]
	v_mul_f64 v[47:48], v[12:13], v[57:58]
	v_fma_f64 v[26:27], v[26:27], v[51:52], -v[39:40]
	v_fma_f64 v[24:25], v[24:25], v[51:52], v[41:42]
	v_fma_f64 v[12:13], v[12:13], v[55:56], v[43:44]
	;; [unrolled: 1-line block ×3, first 2 shown]
	v_add_f64 v[39:40], v[18:19], v[22:23]
	v_add_f64 v[43:44], v[16:17], v[20:21]
	v_fma_f64 v[10:11], v[10:11], v[59:60], -v[45:46]
	v_fma_f64 v[14:15], v[14:15], v[55:56], -v[47:48]
	v_add_f64 v[16:17], v[16:17], -v[20:21]
	v_add_f64 v[41:42], v[6:7], v[26:27]
	v_add_f64 v[45:46], v[4:5], v[24:25]
	v_add_f64 v[4:5], v[4:5], -v[24:25]
	v_add_f64 v[47:48], v[12:13], -v[8:9]
	v_add_f64 v[8:9], v[8:9], v[12:13]
	v_add_f64 v[6:7], v[6:7], -v[26:27]
	v_add_f64 v[20:21], v[10:11], v[14:15]
	v_add_f64 v[10:11], v[14:15], -v[10:11]
	v_add_f64 v[14:15], v[18:19], -v[22:23]
	v_add_f64 v[12:13], v[39:40], v[41:42]
	v_add_f64 v[18:19], v[43:44], v[45:46]
	v_add_f64 v[51:52], v[16:17], -v[4:5]
	v_add_f64 v[22:23], v[47:48], -v[16:17]
	;; [unrolled: 1-line block ×3, first 2 shown]
	v_add_f64 v[16:17], v[47:48], v[16:17]
	v_add_f64 v[47:48], v[4:5], -v[47:48]
	v_add_f64 v[24:25], v[41:42], -v[20:21]
	;; [unrolled: 1-line block ×5, first 2 shown]
	v_add_f64 v[10:11], v[10:11], v[14:15]
	v_add_f64 v[12:13], v[20:21], v[12:13]
	v_add_f64 v[20:21], v[20:21], -v[39:40]
	v_add_f64 v[18:19], v[8:9], v[18:19]
	v_add_f64 v[8:9], v[8:9], -v[43:44]
	v_mul_f64 v[22:23], v[22:23], s[4:5]
	v_add_f64 v[39:40], v[39:40], -v[41:42]
	v_add_f64 v[41:42], v[43:44], -v[45:46]
	v_mul_f64 v[24:25], v[24:25], s[6:7]
	v_mul_f64 v[43:44], v[49:50], s[6:7]
	;; [unrolled: 1-line block ×3, first 2 shown]
	s_mov_b32 s4, 0x36b3c0b5
	s_mov_b32 s5, 0x3fac98ee
	v_mul_f64 v[45:46], v[51:52], s[10:11]
	v_mul_f64 v[49:50], v[53:54], s[10:11]
	s_mov_b32 s7, 0xbfd5d0dc
	s_mov_b32 s6, 0xb247c609
	v_add_f64 v[4:5], v[16:17], v[4:5]
	v_add_f64 v[6:7], v[10:11], v[6:7]
	;; [unrolled: 1-line block ×3, first 2 shown]
	v_mul_f64 v[14:15], v[20:21], s[4:5]
	v_add_f64 v[0:1], v[0:1], v[18:19]
	v_mul_f64 v[57:58], v[8:9], s[4:5]
	v_fma_f64 v[16:17], v[47:48], s[6:7], v[22:23]
	v_fma_f64 v[22:23], v[51:52], s[10:11], -v[22:23]
	v_fma_f64 v[20:21], v[20:21], s[4:5], v[24:25]
	v_fma_f64 v[24:25], v[39:40], s[14:15], -v[24:25]
	v_fma_f64 v[59:60], v[55:56], s[6:7], v[26:27]
	s_mov_b32 s7, 0x3fd5d0dc
	v_fma_f64 v[51:52], v[41:42], s[14:15], -v[43:44]
	s_mov_b32 s15, 0x3fe77f67
	v_fma_f64 v[45:46], v[47:48], s[6:7], -v[45:46]
	v_fma_f64 v[8:9], v[8:9], s[4:5], v[43:44]
	s_mov_b32 s4, 0x37c3f68c
	s_mov_b32 s5, 0xbfdc38aa
	v_fma_f64 v[12:13], v[12:13], s[12:13], v[2:3]
	v_fma_f64 v[10:11], v[39:40], s[14:15], -v[14:15]
	v_fma_f64 v[18:19], v[18:19], s[12:13], v[0:1]
	v_fma_f64 v[14:15], v[53:54], s[10:11], -v[26:27]
	v_fma_f64 v[26:27], v[55:56], s[6:7], -v[49:50]
	;; [unrolled: 1-line block ×3, first 2 shown]
	v_fma_f64 v[16:17], v[4:5], s[4:5], v[16:17]
	v_fma_f64 v[22:23], v[4:5], s[4:5], v[22:23]
	;; [unrolled: 1-line block ×4, first 2 shown]
	v_add_f64 v[20:21], v[20:21], v[12:13]
	v_add_f64 v[24:25], v[24:25], v[12:13]
	;; [unrolled: 1-line block ×4, first 2 shown]
	v_fma_f64 v[45:46], v[6:7], s[4:5], v[26:27]
	v_add_f64 v[8:9], v[51:52], v[18:19]
	v_fma_f64 v[43:44], v[6:7], s[4:5], v[14:15]
	v_add_f64 v[39:40], v[39:40], v[18:19]
	v_add_f64 v[26:27], v[20:21], -v[16:17]
	v_add_f64 v[10:11], v[4:5], v[24:25]
	v_add_f64 v[14:15], v[12:13], -v[22:23]
	;; [unrolled: 2-line block ×3, first 2 shown]
	v_add_f64 v[24:25], v[41:42], v[47:48]
	v_add_f64 v[6:7], v[16:17], v[20:21]
	;; [unrolled: 1-line block ×3, first 2 shown]
	v_add_f64 v[16:17], v[39:40], -v[43:44]
	v_add_f64 v[12:13], v[43:44], v[39:40]
	v_add_f64 v[8:9], v[8:9], -v[45:46]
	v_add_f64 v[4:5], v[47:48], -v[41:42]
	ds_write_b128 v36, v[0:3]
	ds_write_b128 v36, v[24:27] offset:3072
	ds_write_b128 v36, v[20:23] offset:6144
	;; [unrolled: 1-line block ×6, first 2 shown]
.LBB0_17:
	s_or_b32 exec_lo, exec_lo, s1
	s_waitcnt lgkmcnt(0)
	s_barrier
	buffer_gl0_inv
	ds_read_b128 v[4:7], v36
	v_sub_nc_u32_e32 v12, 0, v29
	s_add_u32 s1, s8, 0x53e0
	s_addc_u32 s4, s9, 0
	s_mov_b32 s5, exec_lo
                                        ; implicit-def: $vgpr0_vgpr1
                                        ; implicit-def: $vgpr8_vgpr9
                                        ; implicit-def: $vgpr10_vgpr11
	v_cmpx_ne_u32_e32 0, v28
	s_xor_b32 s5, exec_lo, s5
	s_cbranch_execz .LBB0_19
; %bb.18:
	v_mov_b32_e32 v29, 0
	v_lshlrev_b64 v[0:1], 4, v[28:29]
	v_add_co_u32 v0, s0, s1, v0
	v_add_co_ci_u32_e64 v1, s0, s4, v1, s0
	global_load_dwordx4 v[13:16], v[0:1], off
	ds_read_b128 v[0:3], v12 offset:21504
	s_waitcnt lgkmcnt(0)
	v_add_f64 v[8:9], v[4:5], -v[0:1]
	v_add_f64 v[10:11], v[6:7], v[2:3]
	v_add_f64 v[2:3], v[6:7], -v[2:3]
	v_add_f64 v[0:1], v[4:5], v[0:1]
	v_mul_f64 v[6:7], v[8:9], 0.5
	v_mul_f64 v[4:5], v[10:11], 0.5
	;; [unrolled: 1-line block ×3, first 2 shown]
	s_waitcnt vmcnt(0)
	v_mul_f64 v[8:9], v[6:7], v[15:16]
	v_fma_f64 v[10:11], v[4:5], v[15:16], v[2:3]
	v_fma_f64 v[2:3], v[4:5], v[15:16], -v[2:3]
	v_fma_f64 v[17:18], v[0:1], 0.5, v[8:9]
	v_fma_f64 v[0:1], v[0:1], 0.5, -v[8:9]
	v_fma_f64 v[10:11], -v[13:14], v[6:7], v[10:11]
	v_fma_f64 v[2:3], -v[13:14], v[6:7], v[2:3]
	v_fma_f64 v[8:9], v[4:5], v[13:14], v[17:18]
	v_fma_f64 v[0:1], -v[4:5], v[13:14], v[0:1]
                                        ; implicit-def: $vgpr4_vgpr5
.LBB0_19:
	s_or_saveexec_b32 s0, s5
	v_sub_nc_u32_e32 v14, 0, v31
	v_sub_nc_u32_e32 v13, 0, v35
	s_xor_b32 exec_lo, exec_lo, s0
	s_cbranch_execz .LBB0_21
; %bb.20:
	v_mov_b32_e32 v17, 0
	s_waitcnt lgkmcnt(0)
	v_add_f64 v[8:9], v[4:5], v[6:7]
	v_add_f64 v[0:1], v[4:5], -v[6:7]
	v_mov_b32_e32 v10, 0
	v_mov_b32_e32 v11, 0
	ds_read_b64 v[15:16], v17 offset:10760
	v_mov_b32_e32 v2, v10
	v_mov_b32_e32 v3, v11
	s_waitcnt lgkmcnt(0)
	v_xor_b32_e32 v16, 0x80000000, v16
	ds_write_b64 v17, v[15:16] offset:10760
.LBB0_21:
	s_or_b32 exec_lo, exec_lo, s0
	v_mov_b32_e32 v31, 0
	v_add_nc_u32_e32 v14, v38, v14
	s_waitcnt lgkmcnt(0)
	v_lshlrev_b64 v[4:5], 4, v[30:31]
	v_mov_b32_e32 v35, v31
	v_lshlrev_b64 v[15:16], 4, v[34:35]
	v_add_co_u32 v4, s0, s1, v4
	v_add_co_ci_u32_e64 v5, s0, s4, v5, s0
	v_add_co_u32 v15, s0, s1, v15
	global_load_dwordx4 v[4:7], v[4:5], off
	v_add_co_ci_u32_e64 v16, s0, s4, v16, s0
	global_load_dwordx4 v[15:18], v[15:16], off
	ds_write2_b64 v36, v[8:9], v[10:11] offset1:1
	ds_write_b128 v12, v[0:3] offset:21504
	ds_read_b128 v[0:3], v14
	ds_read_b128 v[8:11], v12 offset:17920
	s_waitcnt lgkmcnt(0)
	v_add_f64 v[19:20], v[0:1], -v[8:9]
	v_add_f64 v[21:22], v[2:3], v[10:11]
	v_add_f64 v[2:3], v[2:3], -v[10:11]
	v_add_f64 v[0:1], v[0:1], v[8:9]
	v_mul_f64 v[10:11], v[19:20], 0.5
	v_mul_f64 v[19:20], v[21:22], 0.5
	v_mul_f64 v[2:3], v[2:3], 0.5
	s_waitcnt vmcnt(1)
	v_mul_f64 v[8:9], v[10:11], v[6:7]
	v_fma_f64 v[21:22], v[19:20], v[6:7], v[2:3]
	v_fma_f64 v[2:3], v[19:20], v[6:7], -v[2:3]
	v_fma_f64 v[6:7], v[0:1], 0.5, v[8:9]
	v_fma_f64 v[0:1], v[0:1], 0.5, -v[8:9]
	v_fma_f64 v[8:9], -v[4:5], v[10:11], v[21:22]
	v_fma_f64 v[2:3], -v[4:5], v[10:11], v[2:3]
	v_fma_f64 v[6:7], v[19:20], v[4:5], v[6:7]
	v_fma_f64 v[0:1], -v[19:20], v[4:5], v[0:1]
	v_add_nc_u32_e32 v19, v37, v13
	ds_write_b64 v14, v[8:9] offset:8
	ds_write_b64 v12, v[2:3] offset:17928
	ds_write_b64 v14, v[6:7]
	ds_write_b64 v12, v[0:1] offset:17920
	ds_read_b128 v[0:3], v19
	ds_read_b128 v[4:7], v12 offset:14336
	s_waitcnt lgkmcnt(0)
	v_add_f64 v[8:9], v[0:1], -v[4:5]
	v_add_f64 v[10:11], v[2:3], v[6:7]
	v_add_f64 v[2:3], v[2:3], -v[6:7]
	v_add_f64 v[0:1], v[0:1], v[4:5]
	v_mul_f64 v[6:7], v[8:9], 0.5
	v_mul_f64 v[8:9], v[10:11], 0.5
	v_mul_f64 v[2:3], v[2:3], 0.5
	s_waitcnt vmcnt(0)
	v_mul_f64 v[4:5], v[6:7], v[17:18]
	v_fma_f64 v[10:11], v[8:9], v[17:18], v[2:3]
	v_fma_f64 v[2:3], v[8:9], v[17:18], -v[2:3]
	v_fma_f64 v[13:14], v[0:1], 0.5, v[4:5]
	v_fma_f64 v[0:1], v[0:1], 0.5, -v[4:5]
	v_fma_f64 v[4:5], -v[15:16], v[6:7], v[10:11]
	v_fma_f64 v[2:3], -v[15:16], v[6:7], v[2:3]
	v_fma_f64 v[6:7], v[8:9], v[15:16], v[13:14]
	v_fma_f64 v[0:1], -v[8:9], v[15:16], v[0:1]
	ds_write_b64 v19, v[4:5] offset:8
	ds_write_b64 v12, v[2:3] offset:14344
	ds_write_b64 v19, v[6:7]
	ds_write_b64 v12, v[0:1] offset:14336
	s_waitcnt lgkmcnt(0)
	s_barrier
	buffer_gl0_inv
	s_and_saveexec_b32 s0, vcc_lo
	s_cbranch_execz .LBB0_24
; %bb.22:
	v_mov_b32_e32 v29, v31
	ds_read_b128 v[2:5], v36
	ds_read_b128 v[6:9], v36 offset:3584
	v_add_co_u32 v0, vcc_lo, s2, v32
	v_add_co_ci_u32_e32 v1, vcc_lo, s3, v33, vcc_lo
	v_lshlrev_b64 v[10:11], 4, v[28:29]
	v_add_co_u32 v26, vcc_lo, v0, v10
	v_add_co_ci_u32_e32 v27, vcc_lo, v1, v11, vcc_lo
	ds_read_b128 v[10:13], v36 offset:7168
	ds_read_b128 v[14:17], v36 offset:10752
	;; [unrolled: 1-line block ×4, first 2 shown]
	v_add_co_u32 v29, vcc_lo, 0x800, v26
	v_add_co_ci_u32_e32 v30, vcc_lo, 0, v27, vcc_lo
	s_waitcnt lgkmcnt(5)
	global_store_dwordx4 v[26:27], v[2:5], off
	s_waitcnt lgkmcnt(4)
	global_store_dwordx4 v[29:30], v[6:9], off offset:1536
	v_add_co_u32 v2, vcc_lo, 0x1800, v26
	v_add_co_ci_u32_e32 v3, vcc_lo, 0, v27, vcc_lo
	v_add_co_u32 v4, vcc_lo, 0x2800, v26
	v_add_co_ci_u32_e32 v5, vcc_lo, 0, v27, vcc_lo
	;; [unrolled: 2-line block ×4, first 2 shown]
	v_cmp_eq_u32_e32 vcc_lo, 0xdf, v28
	s_waitcnt lgkmcnt(3)
	global_store_dwordx4 v[2:3], v[10:13], off offset:1024
	s_waitcnt lgkmcnt(2)
	global_store_dwordx4 v[4:5], v[14:17], off offset:512
	s_waitcnt lgkmcnt(1)
	global_store_dwordx4 v[6:7], v[18:21], off
	s_waitcnt lgkmcnt(0)
	global_store_dwordx4 v[8:9], v[22:25], off offset:1536
	s_and_b32 exec_lo, exec_lo, vcc_lo
	s_cbranch_execz .LBB0_24
; %bb.23:
	v_mov_b32_e32 v2, 0
	v_add_co_u32 v0, vcc_lo, 0x5000, v0
	v_add_co_ci_u32_e32 v1, vcc_lo, 0, v1, vcc_lo
	ds_read_b128 v[2:5], v2 offset:21504
	s_waitcnt lgkmcnt(0)
	global_store_dwordx4 v[0:1], v[2:5], off offset:1024
.LBB0_24:
	s_endpgm
	.section	.rodata,"a",@progbits
	.p2align	6, 0x0
	.amdhsa_kernel fft_rtc_back_len1344_factors_2_2_2_2_2_2_3_7_wgs_224_tpt_224_halfLds_dp_ip_CI_unitstride_sbrr_R2C_dirReg
		.amdhsa_group_segment_fixed_size 0
		.amdhsa_private_segment_fixed_size 0
		.amdhsa_kernarg_size 88
		.amdhsa_user_sgpr_count 6
		.amdhsa_user_sgpr_private_segment_buffer 1
		.amdhsa_user_sgpr_dispatch_ptr 0
		.amdhsa_user_sgpr_queue_ptr 0
		.amdhsa_user_sgpr_kernarg_segment_ptr 1
		.amdhsa_user_sgpr_dispatch_id 0
		.amdhsa_user_sgpr_flat_scratch_init 0
		.amdhsa_user_sgpr_private_segment_size 0
		.amdhsa_wavefront_size32 1
		.amdhsa_uses_dynamic_stack 0
		.amdhsa_system_sgpr_private_segment_wavefront_offset 0
		.amdhsa_system_sgpr_workgroup_id_x 1
		.amdhsa_system_sgpr_workgroup_id_y 0
		.amdhsa_system_sgpr_workgroup_id_z 0
		.amdhsa_system_sgpr_workgroup_info 0
		.amdhsa_system_vgpr_workitem_id 0
		.amdhsa_next_free_vgpr 65
		.amdhsa_next_free_sgpr 21
		.amdhsa_reserve_vcc 1
		.amdhsa_reserve_flat_scratch 0
		.amdhsa_float_round_mode_32 0
		.amdhsa_float_round_mode_16_64 0
		.amdhsa_float_denorm_mode_32 3
		.amdhsa_float_denorm_mode_16_64 3
		.amdhsa_dx10_clamp 1
		.amdhsa_ieee_mode 1
		.amdhsa_fp16_overflow 0
		.amdhsa_workgroup_processor_mode 1
		.amdhsa_memory_ordered 1
		.amdhsa_forward_progress 0
		.amdhsa_shared_vgpr_count 0
		.amdhsa_exception_fp_ieee_invalid_op 0
		.amdhsa_exception_fp_denorm_src 0
		.amdhsa_exception_fp_ieee_div_zero 0
		.amdhsa_exception_fp_ieee_overflow 0
		.amdhsa_exception_fp_ieee_underflow 0
		.amdhsa_exception_fp_ieee_inexact 0
		.amdhsa_exception_int_div_zero 0
	.end_amdhsa_kernel
	.text
.Lfunc_end0:
	.size	fft_rtc_back_len1344_factors_2_2_2_2_2_2_3_7_wgs_224_tpt_224_halfLds_dp_ip_CI_unitstride_sbrr_R2C_dirReg, .Lfunc_end0-fft_rtc_back_len1344_factors_2_2_2_2_2_2_3_7_wgs_224_tpt_224_halfLds_dp_ip_CI_unitstride_sbrr_R2C_dirReg
                                        ; -- End function
	.section	.AMDGPU.csdata,"",@progbits
; Kernel info:
; codeLenInByte = 6892
; NumSgprs: 23
; NumVgprs: 65
; ScratchSize: 0
; MemoryBound: 0
; FloatMode: 240
; IeeeMode: 1
; LDSByteSize: 0 bytes/workgroup (compile time only)
; SGPRBlocks: 2
; VGPRBlocks: 8
; NumSGPRsForWavesPerEU: 23
; NumVGPRsForWavesPerEU: 65
; Occupancy: 12
; WaveLimiterHint : 1
; COMPUTE_PGM_RSRC2:SCRATCH_EN: 0
; COMPUTE_PGM_RSRC2:USER_SGPR: 6
; COMPUTE_PGM_RSRC2:TRAP_HANDLER: 0
; COMPUTE_PGM_RSRC2:TGID_X_EN: 1
; COMPUTE_PGM_RSRC2:TGID_Y_EN: 0
; COMPUTE_PGM_RSRC2:TGID_Z_EN: 0
; COMPUTE_PGM_RSRC2:TIDIG_COMP_CNT: 0
	.text
	.p2alignl 6, 3214868480
	.fill 48, 4, 3214868480
	.type	__hip_cuid_4b64011743b8af5c,@object ; @__hip_cuid_4b64011743b8af5c
	.section	.bss,"aw",@nobits
	.globl	__hip_cuid_4b64011743b8af5c
__hip_cuid_4b64011743b8af5c:
	.byte	0                               ; 0x0
	.size	__hip_cuid_4b64011743b8af5c, 1

	.ident	"AMD clang version 19.0.0git (https://github.com/RadeonOpenCompute/llvm-project roc-6.4.0 25133 c7fe45cf4b819c5991fe208aaa96edf142730f1d)"
	.section	".note.GNU-stack","",@progbits
	.addrsig
	.addrsig_sym __hip_cuid_4b64011743b8af5c
	.amdgpu_metadata
---
amdhsa.kernels:
  - .args:
      - .actual_access:  read_only
        .address_space:  global
        .offset:         0
        .size:           8
        .value_kind:     global_buffer
      - .offset:         8
        .size:           8
        .value_kind:     by_value
      - .actual_access:  read_only
        .address_space:  global
        .offset:         16
        .size:           8
        .value_kind:     global_buffer
      - .actual_access:  read_only
        .address_space:  global
        .offset:         24
        .size:           8
        .value_kind:     global_buffer
      - .offset:         32
        .size:           8
        .value_kind:     by_value
      - .actual_access:  read_only
        .address_space:  global
        .offset:         40
        .size:           8
        .value_kind:     global_buffer
      - .actual_access:  read_only
        .address_space:  global
        .offset:         48
        .size:           8
        .value_kind:     global_buffer
      - .offset:         56
        .size:           4
        .value_kind:     by_value
      - .actual_access:  read_only
        .address_space:  global
        .offset:         64
        .size:           8
        .value_kind:     global_buffer
      - .actual_access:  read_only
        .address_space:  global
        .offset:         72
        .size:           8
        .value_kind:     global_buffer
      - .address_space:  global
        .offset:         80
        .size:           8
        .value_kind:     global_buffer
    .group_segment_fixed_size: 0
    .kernarg_segment_align: 8
    .kernarg_segment_size: 88
    .language:       OpenCL C
    .language_version:
      - 2
      - 0
    .max_flat_workgroup_size: 224
    .name:           fft_rtc_back_len1344_factors_2_2_2_2_2_2_3_7_wgs_224_tpt_224_halfLds_dp_ip_CI_unitstride_sbrr_R2C_dirReg
    .private_segment_fixed_size: 0
    .sgpr_count:     23
    .sgpr_spill_count: 0
    .symbol:         fft_rtc_back_len1344_factors_2_2_2_2_2_2_3_7_wgs_224_tpt_224_halfLds_dp_ip_CI_unitstride_sbrr_R2C_dirReg.kd
    .uniform_work_group_size: 1
    .uses_dynamic_stack: false
    .vgpr_count:     65
    .vgpr_spill_count: 0
    .wavefront_size: 32
    .workgroup_processor_mode: 1
amdhsa.target:   amdgcn-amd-amdhsa--gfx1030
amdhsa.version:
  - 1
  - 2
...

	.end_amdgpu_metadata
